;; amdgpu-corpus repo=ROCm/rocFFT kind=compiled arch=gfx906 opt=O3
	.text
	.amdgcn_target "amdgcn-amd-amdhsa--gfx906"
	.amdhsa_code_object_version 6
	.protected	fft_rtc_fwd_len22_factors_11_2_wgs_64_tpt_2_halfLds_sp_ip_CI_sbrr_dirReg ; -- Begin function fft_rtc_fwd_len22_factors_11_2_wgs_64_tpt_2_halfLds_sp_ip_CI_sbrr_dirReg
	.globl	fft_rtc_fwd_len22_factors_11_2_wgs_64_tpt_2_halfLds_sp_ip_CI_sbrr_dirReg
	.p2align	8
	.type	fft_rtc_fwd_len22_factors_11_2_wgs_64_tpt_2_halfLds_sp_ip_CI_sbrr_dirReg,@function
fft_rtc_fwd_len22_factors_11_2_wgs_64_tpt_2_halfLds_sp_ip_CI_sbrr_dirReg: ; @fft_rtc_fwd_len22_factors_11_2_wgs_64_tpt_2_halfLds_sp_ip_CI_sbrr_dirReg
; %bb.0:
	s_load_dwordx2 s[14:15], s[4:5], 0x18
	s_load_dwordx4 s[8:11], s[4:5], 0x0
	s_load_dwordx2 s[12:13], s[4:5], 0x50
	v_lshrrev_b32_e32 v19, 1, v0
	v_mov_b32_e32 v3, 0
	s_waitcnt lgkmcnt(0)
	s_load_dwordx2 s[2:3], s[14:15], 0x0
	v_cmp_lt_u64_e64 s[0:1], s[10:11], 2
	v_mov_b32_e32 v1, 0
	v_lshl_or_b32 v5, s6, 5, v19
	v_mov_b32_e32 v6, v3
	s_and_b64 vcc, exec, s[0:1]
	v_mov_b32_e32 v2, 0
	s_cbranch_vccnz .LBB0_8
; %bb.1:
	s_load_dwordx2 s[0:1], s[4:5], 0x10
	s_add_u32 s6, s14, 8
	s_addc_u32 s7, s15, 0
	v_mov_b32_e32 v1, 0
	v_mov_b32_e32 v2, 0
	s_waitcnt lgkmcnt(0)
	s_add_u32 s16, s0, 8
	s_addc_u32 s17, s1, 0
	s_mov_b64 s[18:19], 1
.LBB0_2:                                ; =>This Inner Loop Header: Depth=1
	s_load_dwordx2 s[20:21], s[16:17], 0x0
                                        ; implicit-def: $vgpr7_vgpr8
	s_waitcnt lgkmcnt(0)
	v_or_b32_e32 v4, s21, v6
	v_cmp_ne_u64_e32 vcc, 0, v[3:4]
	s_and_saveexec_b64 s[0:1], vcc
	s_xor_b64 s[22:23], exec, s[0:1]
	s_cbranch_execz .LBB0_4
; %bb.3:                                ;   in Loop: Header=BB0_2 Depth=1
	v_cvt_f32_u32_e32 v4, s20
	v_cvt_f32_u32_e32 v7, s21
	s_sub_u32 s0, 0, s20
	s_subb_u32 s1, 0, s21
	v_mac_f32_e32 v4, 0x4f800000, v7
	v_rcp_f32_e32 v4, v4
	v_mul_f32_e32 v4, 0x5f7ffffc, v4
	v_mul_f32_e32 v7, 0x2f800000, v4
	v_trunc_f32_e32 v7, v7
	v_mac_f32_e32 v4, 0xcf800000, v7
	v_cvt_u32_f32_e32 v7, v7
	v_cvt_u32_f32_e32 v4, v4
	v_mul_lo_u32 v8, s0, v7
	v_mul_hi_u32 v9, s0, v4
	v_mul_lo_u32 v11, s1, v4
	v_mul_lo_u32 v10, s0, v4
	v_add_u32_e32 v8, v9, v8
	v_add_u32_e32 v8, v8, v11
	v_mul_hi_u32 v9, v4, v10
	v_mul_lo_u32 v11, v4, v8
	v_mul_hi_u32 v13, v4, v8
	v_mul_hi_u32 v12, v7, v10
	v_mul_lo_u32 v10, v7, v10
	v_mul_hi_u32 v14, v7, v8
	v_add_co_u32_e32 v9, vcc, v9, v11
	v_addc_co_u32_e32 v11, vcc, 0, v13, vcc
	v_mul_lo_u32 v8, v7, v8
	v_add_co_u32_e32 v9, vcc, v9, v10
	v_addc_co_u32_e32 v9, vcc, v11, v12, vcc
	v_addc_co_u32_e32 v10, vcc, 0, v14, vcc
	v_add_co_u32_e32 v8, vcc, v9, v8
	v_addc_co_u32_e32 v9, vcc, 0, v10, vcc
	v_add_co_u32_e32 v4, vcc, v4, v8
	v_addc_co_u32_e32 v7, vcc, v7, v9, vcc
	v_mul_lo_u32 v8, s0, v7
	v_mul_hi_u32 v9, s0, v4
	v_mul_lo_u32 v10, s1, v4
	v_mul_lo_u32 v11, s0, v4
	v_add_u32_e32 v8, v9, v8
	v_add_u32_e32 v8, v8, v10
	v_mul_lo_u32 v12, v4, v8
	v_mul_hi_u32 v13, v4, v11
	v_mul_hi_u32 v14, v4, v8
	;; [unrolled: 1-line block ×3, first 2 shown]
	v_mul_lo_u32 v11, v7, v11
	v_mul_hi_u32 v9, v7, v8
	v_add_co_u32_e32 v12, vcc, v13, v12
	v_addc_co_u32_e32 v13, vcc, 0, v14, vcc
	v_mul_lo_u32 v8, v7, v8
	v_add_co_u32_e32 v11, vcc, v12, v11
	v_addc_co_u32_e32 v10, vcc, v13, v10, vcc
	v_addc_co_u32_e32 v9, vcc, 0, v9, vcc
	v_add_co_u32_e32 v8, vcc, v10, v8
	v_addc_co_u32_e32 v9, vcc, 0, v9, vcc
	v_add_co_u32_e32 v4, vcc, v4, v8
	v_addc_co_u32_e32 v9, vcc, v7, v9, vcc
	v_mad_u64_u32 v[7:8], s[0:1], v5, v9, 0
	v_mul_hi_u32 v10, v5, v4
	v_add_co_u32_e32 v11, vcc, v10, v7
	v_addc_co_u32_e32 v12, vcc, 0, v8, vcc
	v_mad_u64_u32 v[7:8], s[0:1], v6, v4, 0
	v_mad_u64_u32 v[9:10], s[0:1], v6, v9, 0
	v_add_co_u32_e32 v4, vcc, v11, v7
	v_addc_co_u32_e32 v4, vcc, v12, v8, vcc
	v_addc_co_u32_e32 v7, vcc, 0, v10, vcc
	v_add_co_u32_e32 v4, vcc, v4, v9
	v_addc_co_u32_e32 v9, vcc, 0, v7, vcc
	v_mul_lo_u32 v10, s21, v4
	v_mul_lo_u32 v11, s20, v9
	v_mad_u64_u32 v[7:8], s[0:1], s20, v4, 0
	v_add3_u32 v8, v8, v11, v10
	v_sub_u32_e32 v10, v6, v8
	v_mov_b32_e32 v11, s21
	v_sub_co_u32_e32 v7, vcc, v5, v7
	v_subb_co_u32_e64 v10, s[0:1], v10, v11, vcc
	v_subrev_co_u32_e64 v11, s[0:1], s20, v7
	v_subbrev_co_u32_e64 v10, s[0:1], 0, v10, s[0:1]
	v_cmp_le_u32_e64 s[0:1], s21, v10
	v_cndmask_b32_e64 v12, 0, -1, s[0:1]
	v_cmp_le_u32_e64 s[0:1], s20, v11
	v_cndmask_b32_e64 v11, 0, -1, s[0:1]
	v_cmp_eq_u32_e64 s[0:1], s21, v10
	v_cndmask_b32_e64 v10, v12, v11, s[0:1]
	v_add_co_u32_e64 v11, s[0:1], 2, v4
	v_addc_co_u32_e64 v12, s[0:1], 0, v9, s[0:1]
	v_add_co_u32_e64 v13, s[0:1], 1, v4
	v_addc_co_u32_e64 v14, s[0:1], 0, v9, s[0:1]
	v_subb_co_u32_e32 v8, vcc, v6, v8, vcc
	v_cmp_ne_u32_e64 s[0:1], 0, v10
	v_cmp_le_u32_e32 vcc, s21, v8
	v_cndmask_b32_e64 v10, v14, v12, s[0:1]
	v_cndmask_b32_e64 v12, 0, -1, vcc
	v_cmp_le_u32_e32 vcc, s20, v7
	v_cndmask_b32_e64 v7, 0, -1, vcc
	v_cmp_eq_u32_e32 vcc, s21, v8
	v_cndmask_b32_e32 v7, v12, v7, vcc
	v_cmp_ne_u32_e32 vcc, 0, v7
	v_cndmask_b32_e64 v7, v13, v11, s[0:1]
	v_cndmask_b32_e32 v8, v9, v10, vcc
	v_cndmask_b32_e32 v7, v4, v7, vcc
.LBB0_4:                                ;   in Loop: Header=BB0_2 Depth=1
	s_andn2_saveexec_b64 s[0:1], s[22:23]
	s_cbranch_execz .LBB0_6
; %bb.5:                                ;   in Loop: Header=BB0_2 Depth=1
	v_cvt_f32_u32_e32 v4, s20
	s_sub_i32 s22, 0, s20
	v_rcp_iflag_f32_e32 v4, v4
	v_mul_f32_e32 v4, 0x4f7ffffe, v4
	v_cvt_u32_f32_e32 v4, v4
	v_mul_lo_u32 v7, s22, v4
	v_mul_hi_u32 v7, v4, v7
	v_add_u32_e32 v4, v4, v7
	v_mul_hi_u32 v4, v5, v4
	v_mul_lo_u32 v7, v4, s20
	v_add_u32_e32 v8, 1, v4
	v_sub_u32_e32 v7, v5, v7
	v_subrev_u32_e32 v9, s20, v7
	v_cmp_le_u32_e32 vcc, s20, v7
	v_cndmask_b32_e32 v7, v7, v9, vcc
	v_cndmask_b32_e32 v4, v4, v8, vcc
	v_add_u32_e32 v8, 1, v4
	v_cmp_le_u32_e32 vcc, s20, v7
	v_cndmask_b32_e32 v7, v4, v8, vcc
	v_mov_b32_e32 v8, v3
.LBB0_6:                                ;   in Loop: Header=BB0_2 Depth=1
	s_or_b64 exec, exec, s[0:1]
	v_mul_lo_u32 v4, v8, s20
	v_mul_lo_u32 v11, v7, s21
	v_mad_u64_u32 v[9:10], s[0:1], v7, s20, 0
	s_load_dwordx2 s[0:1], s[6:7], 0x0
	s_add_u32 s18, s18, 1
	v_add3_u32 v4, v10, v11, v4
	v_sub_co_u32_e32 v5, vcc, v5, v9
	v_subb_co_u32_e32 v4, vcc, v6, v4, vcc
	s_waitcnt lgkmcnt(0)
	v_mul_lo_u32 v4, s0, v4
	v_mul_lo_u32 v6, s1, v5
	v_mad_u64_u32 v[1:2], s[0:1], s0, v5, v[1:2]
	s_addc_u32 s19, s19, 0
	s_add_u32 s6, s6, 8
	v_add3_u32 v2, v6, v2, v4
	v_mov_b32_e32 v4, s10
	v_mov_b32_e32 v5, s11
	s_addc_u32 s7, s7, 0
	v_cmp_ge_u64_e32 vcc, s[18:19], v[4:5]
	s_add_u32 s16, s16, 8
	s_addc_u32 s17, s17, 0
	s_cbranch_vccnz .LBB0_9
; %bb.7:                                ;   in Loop: Header=BB0_2 Depth=1
	v_mov_b32_e32 v5, v7
	v_mov_b32_e32 v6, v8
	s_branch .LBB0_2
.LBB0_8:
	v_mov_b32_e32 v8, v6
	v_mov_b32_e32 v7, v5
.LBB0_9:
	s_lshl_b64 s[0:1], s[10:11], 3
	s_add_u32 s0, s14, s0
	s_addc_u32 s1, s15, s1
	s_load_dwordx2 s[6:7], s[0:1], 0x0
	s_load_dwordx2 s[10:11], s[4:5], 0x20
	v_and_b32_e32 v37, 1, v0
	v_or_b32_e32 v41, 2, v37
	v_or_b32_e32 v40, 4, v37
	s_waitcnt lgkmcnt(0)
	v_mul_lo_u32 v3, s6, v8
	v_mul_lo_u32 v4, s7, v7
	v_mad_u64_u32 v[9:10], s[0:1], s6, v7, v[1:2]
	v_cmp_gt_u64_e32 vcc, s[10:11], v[7:8]
	v_cmp_le_u64_e64 s[0:1], s[10:11], v[7:8]
	v_add3_u32 v10, v4, v10, v3
	v_or_b32_e32 v39, 6, v37
	v_or_b32_e32 v38, 8, v37
                                        ; implicit-def: $sgpr6_sgpr7
                                        ; implicit-def: $vgpr4
                                        ; implicit-def: $vgpr7
                                        ; implicit-def: $vgpr8
                                        ; implicit-def: $vgpr5
	s_and_saveexec_b64 s[4:5], s[0:1]
	s_xor_b64 s[0:1], exec, s[4:5]
; %bb.10:
	v_or_b32_e32 v4, 2, v37
	v_or_b32_e32 v7, 4, v37
	;; [unrolled: 1-line block ×4, first 2 shown]
	s_mov_b64 s[6:7], 0
; %bb.11:
	s_or_saveexec_b64 s[4:5], s[0:1]
	v_mul_lo_u32 v3, s3, v37
	v_mul_lo_u32 v2, s2, v37
	v_lshlrev_b64 v[0:1], 3, v[9:10]
	v_mov_b32_e32 v24, s7
	v_mov_b32_e32 v23, s6
                                        ; implicit-def: $vgpr30
                                        ; implicit-def: $vgpr26
                                        ; implicit-def: $vgpr18
                                        ; implicit-def: $vgpr14
                                        ; implicit-def: $vgpr10
                                        ; implicit-def: $vgpr12
                                        ; implicit-def: $vgpr22
                                        ; implicit-def: $vgpr32
                                        ; implicit-def: $vgpr28
                                        ; implicit-def: $vgpr16
	s_xor_b64 exec, exec, s[4:5]
	s_cbranch_execz .LBB0_13
; %bb.12:
	v_mad_u64_u32 v[4:5], s[0:1], s2, v41, 0
	v_mov_b32_e32 v6, s13
	v_add_co_u32_e64 v15, s[0:1], s12, v0
	v_addc_co_u32_e64 v16, s[0:1], v6, v1, s[0:1]
	v_lshlrev_b64 v[6:7], 3, v[2:3]
	v_or_b32_e32 v17, 10, v37
	v_mad_u64_u32 v[8:9], s[0:1], s3, v41, v[5:6]
	v_mad_u64_u32 v[9:10], s[0:1], s2, v40, 0
	v_add_co_u32_e64 v6, s[0:1], v15, v6
	v_mov_b32_e32 v5, v8
	v_mov_b32_e32 v8, v10
	v_addc_co_u32_e64 v7, s[0:1], v16, v7, s[0:1]
	v_mad_u64_u32 v[10:11], s[0:1], s3, v40, v[8:9]
	v_mad_u64_u32 v[11:12], s[0:1], s2, v39, 0
	v_lshlrev_b64 v[4:5], 3, v[4:5]
	v_lshlrev_b64 v[8:9], 3, v[9:10]
	v_add_co_u32_e64 v4, s[0:1], v15, v4
	v_mov_b32_e32 v10, v12
	v_addc_co_u32_e64 v5, s[0:1], v16, v5, s[0:1]
	v_mad_u64_u32 v[12:13], s[0:1], s3, v39, v[10:11]
	v_mad_u64_u32 v[13:14], s[0:1], s2, v38, 0
	v_add_co_u32_e64 v33, s[0:1], v15, v8
	v_mov_b32_e32 v10, v14
	v_addc_co_u32_e64 v34, s[0:1], v16, v9, s[0:1]
	v_lshlrev_b64 v[8:9], 3, v[11:12]
	v_mad_u64_u32 v[10:11], s[0:1], s3, v38, v[10:11]
	v_mad_u64_u32 v[11:12], s[0:1], s2, v17, 0
	v_add_co_u32_e64 v35, s[0:1], v15, v8
	v_mov_b32_e32 v14, v10
	v_mov_b32_e32 v10, v12
	v_addc_co_u32_e64 v36, s[0:1], v16, v9, s[0:1]
	v_lshlrev_b64 v[8:9], 3, v[13:14]
	v_mad_u64_u32 v[12:13], s[0:1], s3, v17, v[10:11]
	v_or_b32_e32 v17, 12, v37
	v_mad_u64_u32 v[13:14], s[0:1], s2, v17, 0
	v_add_co_u32_e64 v42, s[0:1], v15, v8
	v_mov_b32_e32 v10, v14
	v_addc_co_u32_e64 v43, s[0:1], v16, v9, s[0:1]
	v_lshlrev_b64 v[8:9], 3, v[11:12]
	v_mad_u64_u32 v[10:11], s[0:1], s3, v17, v[10:11]
	v_or_b32_e32 v17, 14, v37
	v_mad_u64_u32 v[11:12], s[0:1], s2, v17, 0
	v_add_co_u32_e64 v44, s[0:1], v15, v8
	v_mov_b32_e32 v14, v10
	v_mov_b32_e32 v10, v12
	v_addc_co_u32_e64 v45, s[0:1], v16, v9, s[0:1]
	v_lshlrev_b64 v[8:9], 3, v[13:14]
	v_mad_u64_u32 v[12:13], s[0:1], s3, v17, v[10:11]
	v_or_b32_e32 v17, 16, v37
	v_mad_u64_u32 v[13:14], s[0:1], s2, v17, 0
	v_add_co_u32_e64 v46, s[0:1], v15, v8
	v_mov_b32_e32 v10, v14
	v_addc_co_u32_e64 v47, s[0:1], v16, v9, s[0:1]
	v_lshlrev_b64 v[8:9], 3, v[11:12]
	v_mad_u64_u32 v[10:11], s[0:1], s3, v17, v[10:11]
	v_or_b32_e32 v17, 18, v37
	v_mad_u64_u32 v[11:12], s[0:1], s2, v17, 0
	v_add_co_u32_e64 v48, s[0:1], v15, v8
	v_mov_b32_e32 v14, v10
	v_mov_b32_e32 v10, v12
	v_addc_co_u32_e64 v49, s[0:1], v16, v9, s[0:1]
	v_lshlrev_b64 v[8:9], 3, v[13:14]
	v_mad_u64_u32 v[12:13], s[0:1], s3, v17, v[10:11]
	v_or_b32_e32 v17, 20, v37
	v_mad_u64_u32 v[13:14], s[0:1], s2, v17, 0
	v_add_co_u32_e64 v50, s[0:1], v15, v8
	v_mov_b32_e32 v10, v14
	v_addc_co_u32_e64 v51, s[0:1], v16, v9, s[0:1]
	v_lshlrev_b64 v[8:9], 3, v[11:12]
	v_mad_u64_u32 v[10:11], s[0:1], s3, v17, v[10:11]
	v_add_co_u32_e64 v52, s[0:1], v15, v8
	v_mov_b32_e32 v14, v10
	v_addc_co_u32_e64 v53, s[0:1], v16, v9, s[0:1]
	v_lshlrev_b64 v[8:9], 3, v[13:14]
	v_add_co_u32_e64 v54, s[0:1], v15, v8
	v_addc_co_u32_e64 v55, s[0:1], v16, v9, s[0:1]
	global_load_dwordx2 v[23:24], v[6:7], off
	global_load_dwordx2 v[29:30], v[4:5], off
	;; [unrolled: 1-line block ×11, first 2 shown]
	v_mov_b32_e32 v5, v38
	v_mov_b32_e32 v8, v39
	;; [unrolled: 1-line block ×4, first 2 shown]
.LBB0_13:
	s_or_b64 exec, exec, s[4:5]
	v_mul_u32_u24_e32 v6, 22, v19
	s_waitcnt vmcnt(9)
	v_add_f32_e32 v19, v29, v23
	s_waitcnt vmcnt(8)
	v_add_f32_e32 v19, v25, v19
	;; [unrolled: 2-line block ×10, first 2 shown]
	v_add_f32_e32 v19, v29, v31
	v_mul_f32_e32 v34, 0x3f575c64, v19
	v_mul_f32_e32 v36, 0x3ed4b147, v19
	;; [unrolled: 1-line block ×5, first 2 shown]
	v_sub_f32_e32 v33, v30, v32
	v_mov_b32_e32 v35, v34
	v_mov_b32_e32 v42, v36
	;; [unrolled: 1-line block ×5, first 2 shown]
	v_fmac_f32_e32 v35, 0x3f0a6770, v33
	v_fmac_f32_e32 v34, 0xbf0a6770, v33
	;; [unrolled: 1-line block ×10, first 2 shown]
	v_add_f32_e32 v35, v35, v23
	v_add_f32_e32 v34, v34, v23
	;; [unrolled: 1-line block ×11, first 2 shown]
	v_sub_f32_e32 v33, v26, v28
	v_mul_f32_e32 v48, 0x3ed4b147, v23
	v_mov_b32_e32 v49, v48
	v_fmac_f32_e32 v48, 0xbf68dda4, v33
	v_fmac_f32_e32 v49, 0x3f68dda4, v33
	v_add_f32_e32 v34, v48, v34
	v_mul_f32_e32 v48, 0xbf27a4f4, v23
	v_add_f32_e32 v35, v49, v35
	v_mov_b32_e32 v49, v48
	v_fmac_f32_e32 v48, 0xbf4178ce, v33
	v_fmac_f32_e32 v49, 0x3f4178ce, v33
	v_add_f32_e32 v36, v48, v36
	v_mul_f32_e32 v48, 0xbf75a155, v23
	v_add_f32_e32 v42, v49, v42
	;; [unrolled: 6-line block ×3, first 2 shown]
	v_mov_b32_e32 v49, v48
	v_fmac_f32_e32 v48, 0x3f7d64f0, v33
	v_mul_f32_e32 v23, 0x3f575c64, v23
	v_add_f32_e32 v45, v48, v45
	v_mov_b32_e32 v48, v23
	v_fmac_f32_e32 v23, 0x3f0a6770, v33
	v_fmac_f32_e32 v48, 0xbf0a6770, v33
	v_add_f32_e32 v19, v23, v19
	v_add_f32_e32 v23, v17, v21
	v_fmac_f32_e32 v49, 0xbf7d64f0, v33
	v_add_f32_e32 v47, v48, v47
	v_sub_f32_e32 v33, v18, v22
	v_mul_f32_e32 v48, 0xbe11bafb, v23
	v_add_f32_e32 v46, v49, v46
	v_mov_b32_e32 v49, v48
	v_fmac_f32_e32 v48, 0xbf7d64f0, v33
	v_fmac_f32_e32 v49, 0x3f7d64f0, v33
	v_add_f32_e32 v34, v48, v34
	v_mul_f32_e32 v48, 0xbf75a155, v23
	v_add_f32_e32 v35, v49, v35
	v_mov_b32_e32 v49, v48
	v_fmac_f32_e32 v48, 0x3e903f40, v33
	v_fmac_f32_e32 v49, 0xbe903f40, v33
	v_add_f32_e32 v36, v48, v36
	;; [unrolled: 6-line block ×3, first 2 shown]
	v_mul_f32_e32 v48, 0x3f575c64, v23
	v_add_f32_e32 v44, v49, v44
	v_mov_b32_e32 v49, v48
	v_fmac_f32_e32 v48, 0xbf0a6770, v33
	v_mul_f32_e32 v23, 0xbf27a4f4, v23
	v_add_f32_e32 v45, v48, v45
	v_mov_b32_e32 v48, v23
	v_fmac_f32_e32 v23, 0xbf4178ce, v33
	v_fmac_f32_e32 v48, 0x3f4178ce, v33
	v_add_f32_e32 v19, v23, v19
	v_add_f32_e32 v23, v13, v15
	v_fmac_f32_e32 v49, 0x3f0a6770, v33
	v_add_f32_e32 v47, v48, v47
	v_sub_f32_e32 v33, v14, v16
	v_mul_f32_e32 v48, 0xbf27a4f4, v23
	v_add_f32_e32 v46, v49, v46
	v_mov_b32_e32 v49, v48
	v_fmac_f32_e32 v48, 0xbf4178ce, v33
	v_fmac_f32_e32 v49, 0x3f4178ce, v33
	v_add_f32_e32 v34, v48, v34
	v_mul_f32_e32 v48, 0xbe11bafb, v23
	v_add_f32_e32 v35, v49, v35
	v_mov_b32_e32 v49, v48
	v_fmac_f32_e32 v48, 0x3f7d64f0, v33
	v_fmac_f32_e32 v49, 0xbf7d64f0, v33
	v_add_f32_e32 v36, v48, v36
	;; [unrolled: 6-line block ×3, first 2 shown]
	v_mul_f32_e32 v48, 0xbf75a155, v23
	v_add_f32_e32 v44, v49, v44
	v_mov_b32_e32 v49, v48
	v_fmac_f32_e32 v48, 0xbe903f40, v33
	v_mul_f32_e32 v23, 0x3ed4b147, v23
	v_add_f32_e32 v45, v48, v45
	v_mov_b32_e32 v48, v23
	v_fmac_f32_e32 v49, 0x3e903f40, v33
	v_fmac_f32_e32 v48, 0xbf68dda4, v33
	;; [unrolled: 1-line block ×3, first 2 shown]
	v_add_f32_e32 v33, v9, v11
	v_add_f32_e32 v47, v48, v47
	;; [unrolled: 1-line block ×3, first 2 shown]
	v_sub_f32_e32 v48, v10, v12
	v_mul_f32_e32 v19, 0xbf75a155, v33
	v_add_f32_e32 v46, v49, v46
	v_mov_b32_e32 v49, v19
	v_fmac_f32_e32 v19, 0xbe903f40, v48
	v_fmac_f32_e32 v49, 0x3e903f40, v48
	v_add_f32_e32 v19, v19, v34
	v_mul_f32_e32 v34, 0x3f575c64, v33
	v_add_f32_e32 v35, v49, v35
	v_mov_b32_e32 v49, v34
	v_fmac_f32_e32 v34, 0x3f0a6770, v48
	v_fmac_f32_e32 v49, 0xbf0a6770, v48
	v_add_f32_e32 v34, v34, v36
	;; [unrolled: 6-line block ×3, first 2 shown]
	v_mul_f32_e32 v43, 0x3ed4b147, v33
	v_add_f32_e32 v44, v49, v44
	v_mov_b32_e32 v49, v43
	v_fmac_f32_e32 v43, 0x3f68dda4, v48
	v_mul_f32_e32 v33, 0xbe11bafb, v33
	v_add_f32_e32 v43, v43, v45
	v_mov_b32_e32 v45, v33
	v_fmac_f32_e32 v33, 0xbf7d64f0, v48
	v_lshl_add_u32 v6, v6, 2, 0
	v_fmac_f32_e32 v49, 0xbf68dda4, v48
	v_fmac_f32_e32 v45, 0x3f7d64f0, v48
	v_add_f32_e32 v33, v33, v23
	v_mad_u32_u24 v23, v37, 44, v6
	s_movk_i32 s0, 0xffd8
	v_add_f32_e32 v46, v49, v46
	v_add_f32_e32 v45, v45, v47
	v_lshl_add_u32 v48, v37, 2, v6
	v_mad_i32_i24 v49, v37, s0, v23
	ds_write2_b32 v23, v20, v35 offset1:1
	ds_write2_b32 v23, v42, v44 offset0:2 offset1:3
	ds_write2_b32 v23, v46, v45 offset0:4 offset1:5
	;; [unrolled: 1-line block ×4, first 2 shown]
	ds_write_b32 v23, v19 offset:40
	s_waitcnt lgkmcnt(0)
	; wave barrier
	s_waitcnt lgkmcnt(0)
	ds_read2_b32 v[33:34], v49 offset0:11 offset1:13
	ds_read2_b32 v[35:36], v49 offset0:15 offset1:17
	v_lshl_add_u32 v50, v4, 2, v6
	v_lshl_add_u32 v51, v7, 2, v6
	;; [unrolled: 1-line block ×4, first 2 shown]
	ds_read_b32 v47, v48
	ds_read_b32 v46, v49 offset:76
	ds_read_b32 v42, v50
	ds_read_b32 v43, v51
	;; [unrolled: 1-line block ×4, first 2 shown]
	s_mov_b32 s7, 0x3f575c64
	s_mov_b32 s6, 0x3ed4b147
	s_mov_b32 s10, 0xbe11bafb
	s_mov_b32 s11, 0xbf27a4f4
	s_mov_b32 s14, 0xbf75a155
	v_cmp_eq_u32_e64 s[0:1], 0, v37
	s_and_saveexec_b64 s[4:5], s[0:1]
	s_cbranch_execz .LBB0_15
; %bb.14:
	ds_read2_b32 v[19:20], v6 offset0:10 offset1:21
.LBB0_15:
	s_or_b64 exec, exec, s[4:5]
	v_add_f32_e32 v54, v30, v24
	v_add_f32_e32 v54, v26, v54
	;; [unrolled: 1-line block ×8, first 2 shown]
	v_sub_f32_e32 v29, v29, v31
	v_add_f32_e32 v54, v28, v54
	v_mul_f32_e32 v31, 0xbf0a6770, v29
	v_mul_f32_e32 v55, 0xbf68dda4, v29
	;; [unrolled: 1-line block ×5, first 2 shown]
	v_add_f32_e32 v54, v32, v54
	v_add_f32_e32 v30, v30, v32
	v_mov_b32_e32 v32, v31
	v_mov_b32_e32 v56, v55
	;; [unrolled: 1-line block ×5, first 2 shown]
	v_sub_f32_e32 v25, v25, v27
	v_fmac_f32_e32 v32, 0x3f575c64, v30
	v_fma_f32 v31, v30, s7, -v31
	v_fmac_f32_e32 v56, 0x3ed4b147, v30
	v_fma_f32 v55, v30, s6, -v55
	v_fmac_f32_e32 v58, 0xbe11bafb, v30
	v_fma_f32 v57, v30, s10, -v57
	v_fmac_f32_e32 v60, 0xbf27a4f4, v30
	v_fma_f32 v59, v30, s11, -v59
	v_fmac_f32_e32 v61, 0xbf75a155, v30
	v_fma_f32 v29, v30, s14, -v29
	v_add_f32_e32 v26, v26, v28
	v_mul_f32_e32 v27, 0xbf68dda4, v25
	v_add_f32_e32 v32, v32, v24
	v_add_f32_e32 v31, v31, v24
	;; [unrolled: 1-line block ×10, first 2 shown]
	v_mov_b32_e32 v28, v27
	v_fma_f32 v27, v26, s6, -v27
	v_mul_f32_e32 v29, 0xbf4178ce, v25
	v_fmac_f32_e32 v28, 0x3ed4b147, v26
	v_add_f32_e32 v27, v27, v31
	v_mov_b32_e32 v30, v29
	v_fma_f32 v29, v26, s11, -v29
	v_mul_f32_e32 v31, 0x3e903f40, v25
	v_add_f32_e32 v28, v28, v32
	v_add_f32_e32 v29, v29, v55
	v_mov_b32_e32 v32, v31
	v_fma_f32 v31, v26, s14, -v31
	v_mul_f32_e32 v55, 0x3f7d64f0, v25
	v_mul_f32_e32 v25, 0x3f0a6770, v25
	v_sub_f32_e32 v17, v17, v21
	v_fmac_f32_e32 v30, 0xbf27a4f4, v26
	v_add_f32_e32 v31, v31, v57
	v_mov_b32_e32 v57, v25
	v_fma_f32 v25, v26, s7, -v25
	v_add_f32_e32 v18, v18, v22
	v_mul_f32_e32 v21, 0xbf7d64f0, v17
	v_add_f32_e32 v30, v30, v56
	v_mov_b32_e32 v56, v55
	v_add_f32_e32 v24, v25, v24
	v_mov_b32_e32 v22, v21
	v_fma_f32 v21, v18, s10, -v21
	v_mul_f32_e32 v25, 0x3e903f40, v17
	v_fmac_f32_e32 v32, 0xbf75a155, v26
	v_fmac_f32_e32 v56, 0xbe11bafb, v26
	v_fma_f32 v55, v26, s10, -v55
	v_fmac_f32_e32 v57, 0x3f575c64, v26
	v_fmac_f32_e32 v22, 0xbe11bafb, v18
	v_add_f32_e32 v21, v21, v27
	v_mov_b32_e32 v26, v25
	v_fma_f32 v25, v18, s14, -v25
	v_mul_f32_e32 v27, 0x3f68dda4, v17
	v_sub_f32_e32 v13, v13, v15
	v_add_f32_e32 v22, v22, v28
	v_fmac_f32_e32 v26, 0xbf75a155, v18
	v_add_f32_e32 v25, v25, v29
	v_mov_b32_e32 v28, v27
	v_fma_f32 v27, v18, s6, -v27
	v_mul_f32_e32 v29, 0xbf0a6770, v17
	v_mul_f32_e32 v17, 0xbf4178ce, v17
	v_mul_f32_e32 v15, 0xbf4178ce, v13
	v_add_f32_e32 v26, v26, v30
	v_add_f32_e32 v27, v27, v31
	v_mov_b32_e32 v30, v29
	v_mov_b32_e32 v31, v17
	v_add_f32_e32 v14, v14, v16
	v_mov_b32_e32 v16, v15
	v_fmac_f32_e32 v28, 0x3ed4b147, v18
	v_fmac_f32_e32 v30, 0x3f575c64, v18
	v_fma_f32 v29, v18, s7, -v29
	v_fmac_f32_e32 v31, 0xbf27a4f4, v18
	v_fma_f32 v17, v18, s11, -v17
	;; [unrolled: 2-line block ×3, first 2 shown]
	v_mul_f32_e32 v18, 0x3f7d64f0, v13
	v_add_f32_e32 v16, v16, v22
	v_add_f32_e32 v15, v15, v21
	v_mov_b32_e32 v21, v18
	v_fma_f32 v18, v14, s10, -v18
	v_mul_f32_e32 v22, 0xbf0a6770, v13
	v_sub_f32_e32 v9, v9, v11
	v_add_f32_e32 v17, v17, v24
	v_fmac_f32_e32 v21, 0xbe11bafb, v14
	v_add_f32_e32 v18, v18, v25
	v_mov_b32_e32 v24, v22
	v_fma_f32 v22, v14, s7, -v22
	v_mul_f32_e32 v25, 0xbe903f40, v13
	v_mul_f32_e32 v13, 0x3f68dda4, v13
	v_add_f32_e32 v12, v10, v12
	v_mul_f32_e32 v10, 0xbe903f40, v9
	v_add_f32_e32 v21, v21, v26
	v_add_f32_e32 v22, v22, v27
	v_mov_b32_e32 v26, v25
	v_mov_b32_e32 v27, v13
	;; [unrolled: 1-line block ×3, first 2 shown]
	v_fmac_f32_e32 v24, 0x3f575c64, v14
	v_fmac_f32_e32 v26, 0xbf75a155, v14
	v_fma_f32 v25, v14, s14, -v25
	v_fmac_f32_e32 v27, 0x3ed4b147, v14
	v_fma_f32 v13, v14, s6, -v13
	;; [unrolled: 2-line block ×3, first 2 shown]
	v_mul_f32_e32 v14, 0x3f0a6770, v9
	v_add_f32_e32 v11, v11, v16
	v_add_f32_e32 v10, v10, v15
	v_mov_b32_e32 v15, v14
	v_fma_f32 v14, v12, s7, -v14
	v_mul_f32_e32 v16, 0xbf4178ce, v9
	v_add_f32_e32 v32, v32, v58
	v_add_f32_e32 v56, v56, v60
	v_add_f32_e32 v55, v55, v59
	v_add_f32_e32 v57, v57, v61
	v_add_f32_e32 v13, v13, v17
	v_fmac_f32_e32 v15, 0x3f575c64, v12
	v_add_f32_e32 v14, v14, v18
	v_mov_b32_e32 v17, v16
	v_fma_f32 v16, v12, s11, -v16
	v_mul_f32_e32 v18, 0x3f68dda4, v9
	v_mul_f32_e32 v9, 0xbf7d64f0, v9
	v_add_f32_e32 v28, v28, v32
	v_add_f32_e32 v30, v30, v56
	;; [unrolled: 1-line block ×6, first 2 shown]
	v_mov_b32_e32 v21, v18
	v_mov_b32_e32 v22, v9
	v_add_f32_e32 v24, v24, v28
	v_add_f32_e32 v26, v26, v30
	;; [unrolled: 1-line block ×4, first 2 shown]
	v_fmac_f32_e32 v17, 0xbf27a4f4, v12
	v_fmac_f32_e32 v21, 0x3ed4b147, v12
	v_fma_f32 v18, v12, s6, -v18
	v_fmac_f32_e32 v22, 0xbe11bafb, v12
	v_add_f32_e32 v17, v17, v24
	v_add_f32_e32 v21, v21, v26
	;; [unrolled: 1-line block ×4, first 2 shown]
	v_fma_f32 v9, v12, s10, -v9
	v_add_f32_e32 v9, v9, v13
	s_waitcnt lgkmcnt(0)
	; wave barrier
	s_waitcnt lgkmcnt(0)
	ds_write2_b32 v23, v54, v11 offset1:1
	ds_write2_b32 v23, v15, v17 offset0:2 offset1:3
	ds_write2_b32 v23, v21, v22 offset0:4 offset1:5
	;; [unrolled: 1-line block ×4, first 2 shown]
	ds_write_b32 v23, v10 offset:40
	s_waitcnt lgkmcnt(0)
	; wave barrier
	s_waitcnt lgkmcnt(0)
	ds_read2_b32 v[14:15], v49 offset0:11 offset1:13
	ds_read2_b32 v[16:17], v49 offset0:15 offset1:17
	ds_read_b32 v25, v48
	ds_read_b32 v24, v49 offset:76
	ds_read_b32 v18, v50
	ds_read_b32 v21, v51
	;; [unrolled: 1-line block ×4, first 2 shown]
	v_mov_b32_e32 v12, 0
	v_mov_b32_e32 v13, 0
	s_and_saveexec_b64 s[4:5], s[0:1]
	s_cbranch_execz .LBB0_17
; %bb.16:
	ds_read2_b32 v[10:11], v6 offset0:10 offset1:21
	v_mov_b32_e32 v12, 10
	v_mov_b32_e32 v13, 0
.LBB0_17:
	s_or_b64 exec, exec, s[4:5]
	s_and_saveexec_b64 s[4:5], vcc
	s_cbranch_execz .LBB0_20
; %bb.18:
	v_mov_b32_e32 v6, 0
	v_lshlrev_b64 v[26:27], 3, v[5:6]
	v_mov_b32_e32 v9, v6
	v_mov_b32_e32 v13, s9
	v_add_co_u32_e32 v26, vcc, s8, v26
	v_lshlrev_b64 v[8:9], 3, v[8:9]
	v_addc_co_u32_e32 v27, vcc, v13, v27, vcc
	v_add_co_u32_e32 v30, vcc, s8, v8
	v_mov_b32_e32 v8, v6
	v_lshlrev_b32_e32 v5, 3, v37
	v_lshlrev_b64 v[7:8], 3, v[7:8]
	global_load_dwordx2 v[26:27], v[26:27], off
	v_addc_co_u32_e32 v31, vcc, v13, v9, vcc
	global_load_dwordx2 v[28:29], v5, s[8:9]
	v_add_co_u32_e32 v7, vcc, s8, v7
	v_addc_co_u32_e32 v8, vcc, v13, v8, vcc
	global_load_dwordx2 v[48:49], v[30:31], off
	global_load_dwordx2 v[50:51], v[7:8], off
	v_mov_b32_e32 v5, v6
	v_lshlrev_b64 v[4:5], 3, v[4:5]
	v_add_u32_e32 v9, 11, v37
	v_add_co_u32_e32 v4, vcc, s8, v4
	v_addc_co_u32_e32 v5, vcc, v13, v5, vcc
	global_load_dwordx2 v[4:5], v[4:5], off
	v_mad_u64_u32 v[6:7], s[4:5], s2, v9, 0
	v_mov_b32_e32 v8, s13
	v_add_co_u32_e32 v0, vcc, s12, v0
	v_addc_co_u32_e32 v1, vcc, v8, v1, vcc
	v_mad_u64_u32 v[7:8], s[4:5], s3, v9, v[7:8]
	v_lshlrev_b64 v[2:3], 3, v[2:3]
	v_add_u32_e32 v31, 13, v37
	v_add_co_u32_e32 v2, vcc, v0, v2
	v_addc_co_u32_e32 v3, vcc, v1, v3, vcc
	v_lshlrev_b64 v[6:7], 3, v[6:7]
	v_add_co_u32_e32 v6, vcc, v0, v6
	v_addc_co_u32_e32 v7, vcc, v1, v7, vcc
	s_waitcnt vmcnt(3)
	v_mul_f32_e32 v8, v33, v29
	s_waitcnt lgkmcnt(7)
	v_mul_f32_e32 v9, v14, v29
	v_fmac_f32_e32 v8, v14, v28
	v_fma_f32 v13, v33, v28, -v9
	v_mul_f32_e32 v28, v46, v27
	s_waitcnt lgkmcnt(4)
	v_mul_f32_e32 v27, v24, v27
	v_sub_f32_e32 v9, v25, v8
	v_sub_f32_e32 v8, v47, v13
	v_fmac_f32_e32 v28, v24, v26
	v_fma_f32 v24, v46, v26, -v27
	s_waitcnt vmcnt(1)
	v_mul_f32_e32 v27, v35, v51
	v_fma_f32 v14, v25, 2.0, -v9
	v_fma_f32 v13, v47, 2.0, -v8
	v_fmac_f32_e32 v27, v16, v50
	v_mul_f32_e32 v29, v16, v51
	global_store_dwordx2 v[2:3], v[13:14], off
	s_waitcnt lgkmcnt(0)
	v_sub_f32_e32 v3, v23, v28
	v_sub_f32_e32 v16, v21, v27
	v_mad_u64_u32 v[27:28], s[4:5], s2, v41, 0
	v_mul_f32_e32 v25, v36, v49
	s_waitcnt vmcnt(1)
	v_mul_f32_e32 v30, v34, v5
	v_mul_f32_e32 v26, v17, v49
	v_fmac_f32_e32 v25, v17, v48
	v_fma_f32 v17, v35, v50, -v29
	v_fmac_f32_e32 v30, v15, v4
	v_mad_u64_u32 v[28:29], s[4:5], s3, v41, v[28:29]
	v_sub_f32_e32 v2, v45, v24
	v_sub_f32_e32 v24, v18, v30
	v_mad_u64_u32 v[29:30], s[4:5], s2, v31, 0
	global_store_dwordx2 v[6:7], v[8:9], off
	v_mul_f32_e32 v5, v15, v5
	v_mov_b32_e32 v8, v30
	v_mad_u64_u32 v[8:9], s[4:5], s3, v31, v[8:9]
	v_lshlrev_b64 v[6:7], 3, v[27:28]
	v_fma_f32 v13, v36, v48, -v26
	v_mov_b32_e32 v30, v8
	v_mad_u64_u32 v[8:9], s[4:5], s2, v40, 0
	v_fma_f32 v26, v34, v4, -v5
	v_fma_f32 v5, v23, 2.0, -v3
	v_sub_f32_e32 v23, v42, v26
	v_add_co_u32_e32 v6, vcc, v0, v6
	v_sub_f32_e32 v15, v43, v17
	v_fma_f32 v18, v18, 2.0, -v24
	v_fma_f32 v17, v42, 2.0, -v23
	v_addc_co_u32_e32 v7, vcc, v1, v7, vcc
	global_store_dwordx2 v[6:7], v[17:18], off
	v_mad_u64_u32 v[17:18], s[4:5], s3, v40, v[9:10]
	v_add_u32_e32 v18, 15, v37
	v_lshlrev_b64 v[6:7], 3, v[29:30]
	v_mad_u64_u32 v[27:28], s[4:5], s2, v18, 0
	v_add_co_u32_e32 v6, vcc, v0, v6
	v_addc_co_u32_e32 v7, vcc, v1, v7, vcc
	v_mov_b32_e32 v9, v17
	global_store_dwordx2 v[6:7], v[23:24], off
	v_lshlrev_b64 v[6:7], 3, v[8:9]
	v_mov_b32_e32 v8, v28
	v_mad_u64_u32 v[8:9], s[4:5], s3, v18, v[8:9]
	v_sub_f32_e32 v14, v22, v25
	v_add_co_u32_e32 v6, vcc, v0, v6
	v_mov_b32_e32 v28, v8
	v_mad_u64_u32 v[8:9], s[4:5], s2, v39, 0
	v_fma_f32 v26, v22, 2.0, -v14
	v_fma_f32 v22, v21, 2.0, -v16
	v_mad_u64_u32 v[17:18], s[4:5], s3, v39, v[9:10]
	v_fma_f32 v21, v43, 2.0, -v15
	v_addc_co_u32_e32 v7, vcc, v1, v7, vcc
	v_add_u32_e32 v18, 17, v37
	global_store_dwordx2 v[6:7], v[21:22], off
	v_lshlrev_b64 v[6:7], 3, v[27:28]
	v_mad_u64_u32 v[21:22], s[4:5], s2, v18, 0
	v_add_co_u32_e32 v6, vcc, v0, v6
	v_addc_co_u32_e32 v7, vcc, v1, v7, vcc
	v_mov_b32_e32 v9, v17
	global_store_dwordx2 v[6:7], v[15:16], off
	v_lshlrev_b64 v[6:7], 3, v[8:9]
	v_mov_b32_e32 v8, v22
	v_mad_u64_u32 v[8:9], s[4:5], s3, v18, v[8:9]
	v_sub_f32_e32 v13, v44, v13
	v_add_co_u32_e32 v6, vcc, v0, v6
	v_mov_b32_e32 v22, v8
	v_mad_u64_u32 v[8:9], s[4:5], s2, v38, 0
	v_fma_f32 v25, v44, 2.0, -v13
	v_addc_co_u32_e32 v7, vcc, v1, v7, vcc
	v_mad_u64_u32 v[15:16], s[4:5], s3, v38, v[9:10]
	v_add_u32_e32 v18, 19, v37
	global_store_dwordx2 v[6:7], v[25:26], off
	v_lshlrev_b64 v[6:7], 3, v[21:22]
	v_mad_u64_u32 v[16:17], s[4:5], s2, v18, 0
	v_add_co_u32_e32 v6, vcc, v0, v6
	v_addc_co_u32_e32 v7, vcc, v1, v7, vcc
	v_mov_b32_e32 v9, v15
	global_store_dwordx2 v[6:7], v[13:14], off
	v_lshlrev_b64 v[6:7], 3, v[8:9]
	v_mov_b32_e32 v8, v17
	v_mad_u64_u32 v[8:9], s[4:5], s3, v18, v[8:9]
	v_add_co_u32_e32 v6, vcc, v0, v6
	v_fma_f32 v4, v45, 2.0, -v2
	v_addc_co_u32_e32 v7, vcc, v1, v7, vcc
	v_mov_b32_e32 v17, v8
	global_store_dwordx2 v[6:7], v[4:5], off
	v_lshlrev_b64 v[4:5], 3, v[16:17]
	v_add_co_u32_e32 v4, vcc, v0, v4
	v_addc_co_u32_e32 v5, vcc, v1, v5, vcc
	global_store_dwordx2 v[4:5], v[2:3], off
	s_and_b64 exec, exec, s[0:1]
	s_cbranch_execz .LBB0_20
; %bb.19:
	v_lshlrev_b32_e32 v2, 3, v12
	global_load_dwordx2 v[2:3], v2, s[8:9]
	v_mov_b32_e32 v4, 0x50
	v_mov_b32_e32 v6, 0xa8
	v_mad_u64_u32 v[4:5], s[0:1], s2, v4, v[0:1]
	v_mad_u64_u32 v[0:1], s[0:1], s2, v6, v[0:1]
	s_mul_i32 s0, s3, 0x50
	s_mul_i32 s1, s3, 0xa8
	v_add_u32_e32 v5, s0, v5
	v_add_u32_e32 v1, s1, v1
	s_waitcnt vmcnt(0)
	v_mul_f32_e32 v6, v11, v3
	v_mul_f32_e32 v3, v20, v3
	v_fma_f32 v6, v20, v2, -v6
	v_fmac_f32_e32 v3, v11, v2
	v_sub_f32_e32 v2, v19, v6
	v_sub_f32_e32 v3, v10, v3
	v_fma_f32 v6, v19, 2.0, -v2
	v_fma_f32 v7, v10, 2.0, -v3
	global_store_dwordx2 v[4:5], v[6:7], off
	global_store_dwordx2 v[0:1], v[2:3], off
.LBB0_20:
	s_endpgm
	.section	.rodata,"a",@progbits
	.p2align	6, 0x0
	.amdhsa_kernel fft_rtc_fwd_len22_factors_11_2_wgs_64_tpt_2_halfLds_sp_ip_CI_sbrr_dirReg
		.amdhsa_group_segment_fixed_size 0
		.amdhsa_private_segment_fixed_size 0
		.amdhsa_kernarg_size 88
		.amdhsa_user_sgpr_count 6
		.amdhsa_user_sgpr_private_segment_buffer 1
		.amdhsa_user_sgpr_dispatch_ptr 0
		.amdhsa_user_sgpr_queue_ptr 0
		.amdhsa_user_sgpr_kernarg_segment_ptr 1
		.amdhsa_user_sgpr_dispatch_id 0
		.amdhsa_user_sgpr_flat_scratch_init 0
		.amdhsa_user_sgpr_private_segment_size 0
		.amdhsa_uses_dynamic_stack 0
		.amdhsa_system_sgpr_private_segment_wavefront_offset 0
		.amdhsa_system_sgpr_workgroup_id_x 1
		.amdhsa_system_sgpr_workgroup_id_y 0
		.amdhsa_system_sgpr_workgroup_id_z 0
		.amdhsa_system_sgpr_workgroup_info 0
		.amdhsa_system_vgpr_workitem_id 0
		.amdhsa_next_free_vgpr 62
		.amdhsa_next_free_sgpr 24
		.amdhsa_reserve_vcc 1
		.amdhsa_reserve_flat_scratch 0
		.amdhsa_float_round_mode_32 0
		.amdhsa_float_round_mode_16_64 0
		.amdhsa_float_denorm_mode_32 3
		.amdhsa_float_denorm_mode_16_64 3
		.amdhsa_dx10_clamp 1
		.amdhsa_ieee_mode 1
		.amdhsa_fp16_overflow 0
		.amdhsa_exception_fp_ieee_invalid_op 0
		.amdhsa_exception_fp_denorm_src 0
		.amdhsa_exception_fp_ieee_div_zero 0
		.amdhsa_exception_fp_ieee_overflow 0
		.amdhsa_exception_fp_ieee_underflow 0
		.amdhsa_exception_fp_ieee_inexact 0
		.amdhsa_exception_int_div_zero 0
	.end_amdhsa_kernel
	.text
.Lfunc_end0:
	.size	fft_rtc_fwd_len22_factors_11_2_wgs_64_tpt_2_halfLds_sp_ip_CI_sbrr_dirReg, .Lfunc_end0-fft_rtc_fwd_len22_factors_11_2_wgs_64_tpt_2_halfLds_sp_ip_CI_sbrr_dirReg
                                        ; -- End function
	.section	.AMDGPU.csdata,"",@progbits
; Kernel info:
; codeLenInByte = 5224
; NumSgprs: 28
; NumVgprs: 62
; ScratchSize: 0
; MemoryBound: 0
; FloatMode: 240
; IeeeMode: 1
; LDSByteSize: 0 bytes/workgroup (compile time only)
; SGPRBlocks: 3
; VGPRBlocks: 15
; NumSGPRsForWavesPerEU: 28
; NumVGPRsForWavesPerEU: 62
; Occupancy: 4
; WaveLimiterHint : 1
; COMPUTE_PGM_RSRC2:SCRATCH_EN: 0
; COMPUTE_PGM_RSRC2:USER_SGPR: 6
; COMPUTE_PGM_RSRC2:TRAP_HANDLER: 0
; COMPUTE_PGM_RSRC2:TGID_X_EN: 1
; COMPUTE_PGM_RSRC2:TGID_Y_EN: 0
; COMPUTE_PGM_RSRC2:TGID_Z_EN: 0
; COMPUTE_PGM_RSRC2:TIDIG_COMP_CNT: 0
	.type	__hip_cuid_5dbefe4784b31390,@object ; @__hip_cuid_5dbefe4784b31390
	.section	.bss,"aw",@nobits
	.globl	__hip_cuid_5dbefe4784b31390
__hip_cuid_5dbefe4784b31390:
	.byte	0                               ; 0x0
	.size	__hip_cuid_5dbefe4784b31390, 1

	.ident	"AMD clang version 19.0.0git (https://github.com/RadeonOpenCompute/llvm-project roc-6.4.0 25133 c7fe45cf4b819c5991fe208aaa96edf142730f1d)"
	.section	".note.GNU-stack","",@progbits
	.addrsig
	.addrsig_sym __hip_cuid_5dbefe4784b31390
	.amdgpu_metadata
---
amdhsa.kernels:
  - .args:
      - .actual_access:  read_only
        .address_space:  global
        .offset:         0
        .size:           8
        .value_kind:     global_buffer
      - .offset:         8
        .size:           8
        .value_kind:     by_value
      - .actual_access:  read_only
        .address_space:  global
        .offset:         16
        .size:           8
        .value_kind:     global_buffer
      - .actual_access:  read_only
        .address_space:  global
        .offset:         24
        .size:           8
        .value_kind:     global_buffer
      - .offset:         32
        .size:           8
        .value_kind:     by_value
      - .actual_access:  read_only
        .address_space:  global
        .offset:         40
        .size:           8
        .value_kind:     global_buffer
      - .actual_access:  read_only
        .address_space:  global
        .offset:         48
        .size:           8
        .value_kind:     global_buffer
      - .offset:         56
        .size:           4
        .value_kind:     by_value
      - .actual_access:  read_only
        .address_space:  global
        .offset:         64
        .size:           8
        .value_kind:     global_buffer
      - .actual_access:  read_only
        .address_space:  global
        .offset:         72
        .size:           8
        .value_kind:     global_buffer
      - .address_space:  global
        .offset:         80
        .size:           8
        .value_kind:     global_buffer
    .group_segment_fixed_size: 0
    .kernarg_segment_align: 8
    .kernarg_segment_size: 88
    .language:       OpenCL C
    .language_version:
      - 2
      - 0
    .max_flat_workgroup_size: 64
    .name:           fft_rtc_fwd_len22_factors_11_2_wgs_64_tpt_2_halfLds_sp_ip_CI_sbrr_dirReg
    .private_segment_fixed_size: 0
    .sgpr_count:     28
    .sgpr_spill_count: 0
    .symbol:         fft_rtc_fwd_len22_factors_11_2_wgs_64_tpt_2_halfLds_sp_ip_CI_sbrr_dirReg.kd
    .uniform_work_group_size: 1
    .uses_dynamic_stack: false
    .vgpr_count:     62
    .vgpr_spill_count: 0
    .wavefront_size: 64
amdhsa.target:   amdgcn-amd-amdhsa--gfx906
amdhsa.version:
  - 1
  - 2
...

	.end_amdgpu_metadata
